;; amdgpu-corpus repo=llvm/llvm-project kind=harvested arch=n/a opt=n/a
// NOTE: Assertions have been autogenerated by utils/update_mc_test_checks.py UTC_ARGS: --version 5
// RUN: llvm-mc -triple=amdgcn -mcpu=gfx1170 -mattr=-real-true16 -show-encoding %s | FileCheck --check-prefixes=GFX1170 %s
// RUN: llvm-mc -triple=amdgcn -mcpu=gfx1170 -mattr=-real-true16 -show-encoding %s | %extract-encodings | llvm-mc -triple=amdgcn -mcpu=gfx1170 -mattr=-real-true16 -disassemble -show-encoding | FileCheck --strict-whitespace --check-prefixes=GFX1170 %s

v_max_num_f16 v5, v1, v2
// GFX1170: v_max_num_f16_e32 v5, v1, v2            ; encoding: [0x01,0x05,0x0a,0x72]

v_max_num_f16 v5, v127, v2
// GFX1170: v_max_num_f16_e32 v5, v127, v2          ; encoding: [0x7f,0x05,0x0a,0x72]

v_max_num_f16 v5, s1, v2
// GFX1170: v_max_num_f16_e32 v5, s1, v2            ; encoding: [0x01,0x04,0x0a,0x72]

v_max_num_f16 v5, s105, v2
// GFX1170: v_max_num_f16_e32 v5, s105, v2          ; encoding: [0x69,0x04,0x0a,0x72]

v_max_num_f16 v5, vcc_lo, v2
// GFX1170: v_max_num_f16_e32 v5, vcc_lo, v2        ; encoding: [0x6a,0x04,0x0a,0x72]

v_max_num_f16 v5, vcc_hi, v2
// GFX1170: v_max_num_f16_e32 v5, vcc_hi, v2        ; encoding: [0x6b,0x04,0x0a,0x72]

v_max_num_f16 v5, ttmp15, v2
// GFX1170: v_max_num_f16_e32 v5, ttmp15, v2        ; encoding: [0x7b,0x04,0x0a,0x72]

v_max_num_f16 v5, m0, v2
// GFX1170: v_max_num_f16_e32 v5, m0, v2            ; encoding: [0x7d,0x04,0x0a,0x72]

v_max_num_f16 v5, exec_lo, v2
// GFX1170: v_max_num_f16_e32 v5, exec_lo, v2       ; encoding: [0x7e,0x04,0x0a,0x72]

v_max_num_f16 v5, exec_hi, v2
// GFX1170: v_max_num_f16_e32 v5, exec_hi, v2       ; encoding: [0x7f,0x04,0x0a,0x72]

v_max_num_f16 v5, null, v2
// GFX1170: v_max_num_f16_e32 v5, null, v2          ; encoding: [0x7c,0x04,0x0a,0x72]

v_max_num_f16 v5, -1, v2
// GFX1170: v_max_num_f16_e32 v5, -1, v2            ; encoding: [0xc1,0x04,0x0a,0x72]

v_max_num_f16 v5, 0.5, v2
// GFX1170: v_max_num_f16_e32 v5, 0.5, v2           ; encoding: [0xf0,0x04,0x0a,0x72]

v_max_num_f16 v5, src_scc, v2
// GFX1170: v_max_num_f16_e32 v5, src_scc, v2       ; encoding: [0xfd,0x04,0x0a,0x72]

v_max_num_f16 v127, 0xfe0b, v127
// GFX1170: v_max_num_f16_e32 v127, 0xfe0b, v127    ; encoding: [0xff,0xfe,0xfe,0x72,0x0b,0xfe,0x00,0x00]

v_max_num_f32 v5, v1, v2
// GFX1170: v_max_num_f32_e32 v5, v1, v2            ; encoding: [0x01,0x05,0x0a,0x20]

v_max_num_f32 v5, v255, v2
// GFX1170: v_max_num_f32_e32 v5, v255, v2          ; encoding: [0xff,0x05,0x0a,0x20]

v_max_num_f32 v5, s1, v2
// GFX1170: v_max_num_f32_e32 v5, s1, v2            ; encoding: [0x01,0x04,0x0a,0x20]

v_max_num_f32 v5, s105, v2
// GFX1170: v_max_num_f32_e32 v5, s105, v2          ; encoding: [0x69,0x04,0x0a,0x20]

v_max_num_f32 v5, vcc_lo, v2
// GFX1170: v_max_num_f32_e32 v5, vcc_lo, v2        ; encoding: [0x6a,0x04,0x0a,0x20]

v_max_num_f32 v5, vcc_hi, v2
// GFX1170: v_max_num_f32_e32 v5, vcc_hi, v2        ; encoding: [0x6b,0x04,0x0a,0x20]

v_max_num_f32 v5, ttmp15, v2
// GFX1170: v_max_num_f32_e32 v5, ttmp15, v2        ; encoding: [0x7b,0x04,0x0a,0x20]

v_max_num_f32 v5, m0, v2
// GFX1170: v_max_num_f32_e32 v5, m0, v2            ; encoding: [0x7d,0x04,0x0a,0x20]

v_max_num_f32 v5, exec_lo, v2
// GFX1170: v_max_num_f32_e32 v5, exec_lo, v2       ; encoding: [0x7e,0x04,0x0a,0x20]

v_max_num_f32 v5, exec_hi, v2
// GFX1170: v_max_num_f32_e32 v5, exec_hi, v2       ; encoding: [0x7f,0x04,0x0a,0x20]

v_max_num_f32 v5, null, v2
// GFX1170: v_max_num_f32_e32 v5, null, v2          ; encoding: [0x7c,0x04,0x0a,0x20]

v_max_num_f32 v5, -1, v2
// GFX1170: v_max_num_f32_e32 v5, -1, v2            ; encoding: [0xc1,0x04,0x0a,0x20]

v_max_num_f32 v5, 0.5, v2
// GFX1170: v_max_num_f32_e32 v5, 0.5, v2           ; encoding: [0xf0,0x04,0x0a,0x20]

v_max_num_f32 v5, src_scc, v2
// GFX1170: v_max_num_f32_e32 v5, src_scc, v2       ; encoding: [0xfd,0x04,0x0a,0x20]

v_max_num_f32 v255, 0xaf123456, v255
// GFX1170: v_max_num_f32_e32 v255, 0xaf123456, v255 ; encoding: [0xff,0xfe,0xff,0x21,0x56,0x34,0x12,0xaf]

v_min_num_f16 v5, v1, v2
// GFX1170: v_min_num_f16_e32 v5, v1, v2            ; encoding: [0x01,0x05,0x0a,0x74]

v_min_num_f16 v5, v127, v2
// GFX1170: v_min_num_f16_e32 v5, v127, v2          ; encoding: [0x7f,0x05,0x0a,0x74]

v_min_num_f16 v5, s1, v2
// GFX1170: v_min_num_f16_e32 v5, s1, v2            ; encoding: [0x01,0x04,0x0a,0x74]

v_min_num_f16 v5, s105, v2
// GFX1170: v_min_num_f16_e32 v5, s105, v2          ; encoding: [0x69,0x04,0x0a,0x74]

v_min_num_f16 v5, vcc_lo, v2
// GFX1170: v_min_num_f16_e32 v5, vcc_lo, v2        ; encoding: [0x6a,0x04,0x0a,0x74]

v_min_num_f16 v5, vcc_hi, v2
// GFX1170: v_min_num_f16_e32 v5, vcc_hi, v2        ; encoding: [0x6b,0x04,0x0a,0x74]

v_min_num_f16 v5, ttmp15, v2
// GFX1170: v_min_num_f16_e32 v5, ttmp15, v2        ; encoding: [0x7b,0x04,0x0a,0x74]

v_min_num_f16 v5, m0, v2
// GFX1170: v_min_num_f16_e32 v5, m0, v2            ; encoding: [0x7d,0x04,0x0a,0x74]

v_min_num_f16 v5, exec_lo, v2
// GFX1170: v_min_num_f16_e32 v5, exec_lo, v2       ; encoding: [0x7e,0x04,0x0a,0x74]

v_min_num_f16 v5, exec_hi, v2
// GFX1170: v_min_num_f16_e32 v5, exec_hi, v2       ; encoding: [0x7f,0x04,0x0a,0x74]

v_min_num_f16 v5, null, v2
// GFX1170: v_min_num_f16_e32 v5, null, v2          ; encoding: [0x7c,0x04,0x0a,0x74]

v_min_num_f16 v5, -1, v2
// GFX1170: v_min_num_f16_e32 v5, -1, v2            ; encoding: [0xc1,0x04,0x0a,0x74]

v_min_num_f16 v5, 0.5, v2
// GFX1170: v_min_num_f16_e32 v5, 0.5, v2           ; encoding: [0xf0,0x04,0x0a,0x74]

v_min_num_f16 v5, src_scc, v2
// GFX1170: v_min_num_f16_e32 v5, src_scc, v2       ; encoding: [0xfd,0x04,0x0a,0x74]

v_min_num_f16 v127, 0xfe0b, v127
// GFX1170: v_min_num_f16_e32 v127, 0xfe0b, v127    ; encoding: [0xff,0xfe,0xfe,0x74,0x0b,0xfe,0x00,0x00]

v_min_num_f32 v5, v1, v2
// GFX1170: v_min_num_f32_e32 v5, v1, v2            ; encoding: [0x01,0x05,0x0a,0x1e]

v_min_num_f32 v5, v255, v2
// GFX1170: v_min_num_f32_e32 v5, v255, v2          ; encoding: [0xff,0x05,0x0a,0x1e]

v_min_num_f32 v5, s1, v2
// GFX1170: v_min_num_f32_e32 v5, s1, v2            ; encoding: [0x01,0x04,0x0a,0x1e]

v_min_num_f32 v5, s105, v2
// GFX1170: v_min_num_f32_e32 v5, s105, v2          ; encoding: [0x69,0x04,0x0a,0x1e]

v_min_num_f32 v5, vcc_lo, v2
// GFX1170: v_min_num_f32_e32 v5, vcc_lo, v2        ; encoding: [0x6a,0x04,0x0a,0x1e]

v_min_num_f32 v5, vcc_hi, v2
// GFX1170: v_min_num_f32_e32 v5, vcc_hi, v2        ; encoding: [0x6b,0x04,0x0a,0x1e]

v_min_num_f32 v5, ttmp15, v2
// GFX1170: v_min_num_f32_e32 v5, ttmp15, v2        ; encoding: [0x7b,0x04,0x0a,0x1e]

v_min_num_f32 v5, m0, v2
// GFX1170: v_min_num_f32_e32 v5, m0, v2            ; encoding: [0x7d,0x04,0x0a,0x1e]

v_min_num_f32 v5, exec_lo, v2
// GFX1170: v_min_num_f32_e32 v5, exec_lo, v2       ; encoding: [0x7e,0x04,0x0a,0x1e]

v_min_num_f32 v5, exec_hi, v2
// GFX1170: v_min_num_f32_e32 v5, exec_hi, v2       ; encoding: [0x7f,0x04,0x0a,0x1e]

v_min_num_f32 v5, null, v2
// GFX1170: v_min_num_f32_e32 v5, null, v2          ; encoding: [0x7c,0x04,0x0a,0x1e]

v_min_num_f32 v5, -1, v2
// GFX1170: v_min_num_f32_e32 v5, -1, v2            ; encoding: [0xc1,0x04,0x0a,0x1e]

v_min_num_f32 v5, 0.5, v2
// GFX1170: v_min_num_f32_e32 v5, 0.5, v2           ; encoding: [0xf0,0x04,0x0a,0x1e]

v_min_num_f32 v5, src_scc, v2
// GFX1170: v_min_num_f32_e32 v5, src_scc, v2       ; encoding: [0xfd,0x04,0x0a,0x1e]

v_min_num_f32 v255, 0xaf123456, v255
// GFX1170: v_min_num_f32_e32 v255, 0xaf123456, v255 ; encoding: [0xff,0xfe,0xff,0x1f,0x56,0x34,0x12,0xaf]

v_min_num_f64 v[5:6], v[1:2], v[3:4]
// GFX1170: v_min_num_f64 v[5:6], v[1:2], v[3:4]    ; encoding: [0x05,0x00,0x29,0xd7,0x01,0x07,0x02,0x02]

v_min_num_f64 v[5:6], v[254:255], v[2:3]
// GFX1170: v_min_num_f64 v[5:6], v[254:255], v[2:3] ; encoding: [0x05,0x00,0x29,0xd7,0xfe,0x05,0x02,0x02]

v_min_num_f64 v[5:6], s[0:1], v[2:3]
// GFX1170: v_min_num_f64 v[5:6], s[0:1], v[2:3]    ; encoding: [0x05,0x00,0x29,0xd7,0x00,0x04,0x02,0x02]

v_min_num_f64 v[5:6], s[104:105], v[2:3]
// GFX1170: v_min_num_f64 v[5:6], s[104:105], v[2:3] ; encoding: [0x05,0x00,0x29,0xd7,0x68,0x04,0x02,0x02]

v_min_num_f64 v[5:6], vcc, v[2:3]
// GFX1170: v_min_num_f64 v[5:6], vcc, v[2:3]       ; encoding: [0x05,0x00,0x29,0xd7,0x6a,0x04,0x02,0x02]

v_min_num_f64 v[5:6], ttmp[14:15], v[2:3]
// GFX1170: v_min_num_f64 v[5:6], ttmp[14:15], v[2:3] ; encoding: [0x05,0x00,0x29,0xd7,0x7a,0x04,0x02,0x02]

v_min_num_f64 v[5:6], exec, v[2:3]
// GFX1170: v_min_num_f64 v[5:6], exec, v[2:3]      ; encoding: [0x05,0x00,0x29,0xd7,0x7e,0x04,0x02,0x02]

v_min_num_f64 v[5:6], null, v[2:3]
// GFX1170: v_min_num_f64 v[5:6], null, v[2:3]      ; encoding: [0x05,0x00,0x29,0xd7,0x7c,0x04,0x02,0x02]

v_min_num_f64 v[5:6], -1, v[2:3]
// GFX1170: v_min_num_f64 v[5:6], -1, v[2:3]        ; encoding: [0x05,0x00,0x29,0xd7,0xc1,0x04,0x02,0x02]

v_min_num_f64 v[5:6], 0.5, v[2:3]
// GFX1170: v_min_num_f64 v[5:6], 0.5, v[2:3]       ; encoding: [0x05,0x00,0x29,0xd7,0xf0,0x04,0x02,0x02]

v_min_num_f64 v[5:6], src_scc, v[2:3]
// GFX1170: v_min_num_f64 v[5:6], src_scc, v[2:3]   ; encoding: [0x05,0x00,0x29,0xd7,0xfd,0x04,0x02,0x02]

v_min_num_f64 v[254:255], 0xaf123456, v[254:255]
// GFX1170: v_min_num_f64 v[254:255], 0xaf123456, v[254:255] ; encoding: [0xfe,0x00,0x29,0xd7,0xff,0xfc,0x03,0x02,0x56,0x34,0x12,0xaf]
